;; amdgpu-corpus repo=ROCm/rocFFT kind=compiled arch=gfx1030 opt=O3
	.text
	.amdgcn_target "amdgcn-amd-amdhsa--gfx1030"
	.amdhsa_code_object_version 6
	.protected	fft_rtc_back_len686_factors_7_7_7_2_wgs_49_tpt_49_half_op_CI_CI_unitstride_sbrr_R2C_dirReg ; -- Begin function fft_rtc_back_len686_factors_7_7_7_2_wgs_49_tpt_49_half_op_CI_CI_unitstride_sbrr_R2C_dirReg
	.globl	fft_rtc_back_len686_factors_7_7_7_2_wgs_49_tpt_49_half_op_CI_CI_unitstride_sbrr_R2C_dirReg
	.p2align	8
	.type	fft_rtc_back_len686_factors_7_7_7_2_wgs_49_tpt_49_half_op_CI_CI_unitstride_sbrr_R2C_dirReg,@function
fft_rtc_back_len686_factors_7_7_7_2_wgs_49_tpt_49_half_op_CI_CI_unitstride_sbrr_R2C_dirReg: ; @fft_rtc_back_len686_factors_7_7_7_2_wgs_49_tpt_49_half_op_CI_CI_unitstride_sbrr_R2C_dirReg
; %bb.0:
	s_clause 0x2
	s_load_dwordx4 s[12:15], s[4:5], 0x0
	s_load_dwordx4 s[8:11], s[4:5], 0x58
	;; [unrolled: 1-line block ×3, first 2 shown]
	v_mul_u32_u24_e32 v1, 0x53a, v0
	v_mov_b32_e32 v3, 0
	v_add_nc_u32_sdwa v5, s6, v1 dst_sel:DWORD dst_unused:UNUSED_PAD src0_sel:DWORD src1_sel:WORD_1
	v_mov_b32_e32 v1, 0
	v_mov_b32_e32 v6, v3
	v_mov_b32_e32 v2, 0
	s_waitcnt lgkmcnt(0)
	v_cmp_lt_u64_e64 s0, s[14:15], 2
	s_and_b32 vcc_lo, exec_lo, s0
	s_cbranch_vccnz .LBB0_8
; %bb.1:
	s_load_dwordx2 s[0:1], s[4:5], 0x10
	v_mov_b32_e32 v1, 0
	v_mov_b32_e32 v2, 0
	s_add_u32 s2, s18, 8
	s_addc_u32 s3, s19, 0
	s_add_u32 s6, s16, 8
	s_addc_u32 s7, s17, 0
	v_mov_b32_e32 v9, v2
	v_mov_b32_e32 v8, v1
	s_mov_b64 s[22:23], 1
	s_waitcnt lgkmcnt(0)
	s_add_u32 s20, s0, 8
	s_addc_u32 s21, s1, 0
.LBB0_2:                                ; =>This Inner Loop Header: Depth=1
	s_load_dwordx2 s[24:25], s[20:21], 0x0
                                        ; implicit-def: $vgpr12_vgpr13
	s_mov_b32 s0, exec_lo
	s_waitcnt lgkmcnt(0)
	v_or_b32_e32 v4, s25, v6
	v_cmpx_ne_u64_e32 0, v[3:4]
	s_xor_b32 s1, exec_lo, s0
	s_cbranch_execz .LBB0_4
; %bb.3:                                ;   in Loop: Header=BB0_2 Depth=1
	v_cvt_f32_u32_e32 v4, s24
	v_cvt_f32_u32_e32 v7, s25
	s_sub_u32 s0, 0, s24
	s_subb_u32 s26, 0, s25
	v_fmac_f32_e32 v4, 0x4f800000, v7
	v_rcp_f32_e32 v4, v4
	v_mul_f32_e32 v4, 0x5f7ffffc, v4
	v_mul_f32_e32 v7, 0x2f800000, v4
	v_trunc_f32_e32 v7, v7
	v_fmac_f32_e32 v4, 0xcf800000, v7
	v_cvt_u32_f32_e32 v7, v7
	v_cvt_u32_f32_e32 v4, v4
	v_mul_lo_u32 v10, s0, v7
	v_mul_hi_u32 v11, s0, v4
	v_mul_lo_u32 v12, s26, v4
	v_add_nc_u32_e32 v10, v11, v10
	v_mul_lo_u32 v11, s0, v4
	v_add_nc_u32_e32 v10, v10, v12
	v_mul_hi_u32 v12, v4, v11
	v_mul_lo_u32 v13, v4, v10
	v_mul_hi_u32 v14, v4, v10
	v_mul_hi_u32 v15, v7, v11
	v_mul_lo_u32 v11, v7, v11
	v_mul_hi_u32 v16, v7, v10
	v_mul_lo_u32 v10, v7, v10
	v_add_co_u32 v12, vcc_lo, v12, v13
	v_add_co_ci_u32_e32 v13, vcc_lo, 0, v14, vcc_lo
	v_add_co_u32 v11, vcc_lo, v12, v11
	v_add_co_ci_u32_e32 v11, vcc_lo, v13, v15, vcc_lo
	v_add_co_ci_u32_e32 v12, vcc_lo, 0, v16, vcc_lo
	v_add_co_u32 v10, vcc_lo, v11, v10
	v_add_co_ci_u32_e32 v11, vcc_lo, 0, v12, vcc_lo
	v_add_co_u32 v4, vcc_lo, v4, v10
	v_add_co_ci_u32_e32 v7, vcc_lo, v7, v11, vcc_lo
	v_mul_hi_u32 v10, s0, v4
	v_mul_lo_u32 v12, s26, v4
	v_mul_lo_u32 v11, s0, v7
	v_add_nc_u32_e32 v10, v10, v11
	v_mul_lo_u32 v11, s0, v4
	v_add_nc_u32_e32 v10, v10, v12
	v_mul_hi_u32 v12, v4, v11
	v_mul_lo_u32 v13, v4, v10
	v_mul_hi_u32 v14, v4, v10
	v_mul_hi_u32 v15, v7, v11
	v_mul_lo_u32 v11, v7, v11
	v_mul_hi_u32 v16, v7, v10
	v_mul_lo_u32 v10, v7, v10
	v_add_co_u32 v12, vcc_lo, v12, v13
	v_add_co_ci_u32_e32 v13, vcc_lo, 0, v14, vcc_lo
	v_add_co_u32 v11, vcc_lo, v12, v11
	v_add_co_ci_u32_e32 v11, vcc_lo, v13, v15, vcc_lo
	v_add_co_ci_u32_e32 v12, vcc_lo, 0, v16, vcc_lo
	v_add_co_u32 v10, vcc_lo, v11, v10
	v_add_co_ci_u32_e32 v11, vcc_lo, 0, v12, vcc_lo
	v_add_co_u32 v4, vcc_lo, v4, v10
	v_add_co_ci_u32_e32 v7, vcc_lo, v7, v11, vcc_lo
	v_mul_hi_u32 v16, v5, v4
	v_mad_u64_u32 v[12:13], null, v6, v4, 0
	v_mad_u64_u32 v[10:11], null, v5, v7, 0
	;; [unrolled: 1-line block ×3, first 2 shown]
	v_add_co_u32 v4, vcc_lo, v16, v10
	v_add_co_ci_u32_e32 v7, vcc_lo, 0, v11, vcc_lo
	v_add_co_u32 v4, vcc_lo, v4, v12
	v_add_co_ci_u32_e32 v4, vcc_lo, v7, v13, vcc_lo
	v_add_co_ci_u32_e32 v7, vcc_lo, 0, v15, vcc_lo
	v_add_co_u32 v4, vcc_lo, v4, v14
	v_add_co_ci_u32_e32 v7, vcc_lo, 0, v7, vcc_lo
	v_mul_lo_u32 v12, s25, v4
	v_mad_u64_u32 v[10:11], null, s24, v4, 0
	v_mul_lo_u32 v13, s24, v7
	v_sub_co_u32 v10, vcc_lo, v5, v10
	v_add3_u32 v11, v11, v13, v12
	v_sub_nc_u32_e32 v12, v6, v11
	v_subrev_co_ci_u32_e64 v12, s0, s25, v12, vcc_lo
	v_add_co_u32 v13, s0, v4, 2
	v_add_co_ci_u32_e64 v14, s0, 0, v7, s0
	v_sub_co_u32 v15, s0, v10, s24
	v_sub_co_ci_u32_e32 v11, vcc_lo, v6, v11, vcc_lo
	v_subrev_co_ci_u32_e64 v12, s0, 0, v12, s0
	v_cmp_le_u32_e32 vcc_lo, s24, v15
	v_cmp_eq_u32_e64 s0, s25, v11
	v_cndmask_b32_e64 v15, 0, -1, vcc_lo
	v_cmp_le_u32_e32 vcc_lo, s25, v12
	v_cndmask_b32_e64 v16, 0, -1, vcc_lo
	v_cmp_le_u32_e32 vcc_lo, s24, v10
	;; [unrolled: 2-line block ×3, first 2 shown]
	v_cndmask_b32_e64 v17, 0, -1, vcc_lo
	v_cmp_eq_u32_e32 vcc_lo, s25, v12
	v_cndmask_b32_e64 v10, v17, v10, s0
	v_cndmask_b32_e32 v12, v16, v15, vcc_lo
	v_add_co_u32 v15, vcc_lo, v4, 1
	v_add_co_ci_u32_e32 v16, vcc_lo, 0, v7, vcc_lo
	v_cmp_ne_u32_e32 vcc_lo, 0, v12
	v_cndmask_b32_e32 v11, v16, v14, vcc_lo
	v_cndmask_b32_e32 v12, v15, v13, vcc_lo
	v_cmp_ne_u32_e32 vcc_lo, 0, v10
	v_cndmask_b32_e32 v13, v7, v11, vcc_lo
	v_cndmask_b32_e32 v12, v4, v12, vcc_lo
.LBB0_4:                                ;   in Loop: Header=BB0_2 Depth=1
	s_andn2_saveexec_b32 s0, s1
	s_cbranch_execz .LBB0_6
; %bb.5:                                ;   in Loop: Header=BB0_2 Depth=1
	v_cvt_f32_u32_e32 v4, s24
	s_sub_i32 s1, 0, s24
	v_mov_b32_e32 v13, v3
	v_rcp_iflag_f32_e32 v4, v4
	v_mul_f32_e32 v4, 0x4f7ffffe, v4
	v_cvt_u32_f32_e32 v4, v4
	v_mul_lo_u32 v7, s1, v4
	v_mul_hi_u32 v7, v4, v7
	v_add_nc_u32_e32 v4, v4, v7
	v_mul_hi_u32 v4, v5, v4
	v_mul_lo_u32 v7, v4, s24
	v_add_nc_u32_e32 v10, 1, v4
	v_sub_nc_u32_e32 v7, v5, v7
	v_subrev_nc_u32_e32 v11, s24, v7
	v_cmp_le_u32_e32 vcc_lo, s24, v7
	v_cndmask_b32_e32 v7, v7, v11, vcc_lo
	v_cndmask_b32_e32 v4, v4, v10, vcc_lo
	v_cmp_le_u32_e32 vcc_lo, s24, v7
	v_add_nc_u32_e32 v10, 1, v4
	v_cndmask_b32_e32 v12, v4, v10, vcc_lo
.LBB0_6:                                ;   in Loop: Header=BB0_2 Depth=1
	s_or_b32 exec_lo, exec_lo, s0
	v_mul_lo_u32 v4, v13, s24
	v_mul_lo_u32 v7, v12, s25
	s_load_dwordx2 s[0:1], s[6:7], 0x0
	v_mad_u64_u32 v[10:11], null, v12, s24, 0
	s_load_dwordx2 s[24:25], s[2:3], 0x0
	s_add_u32 s22, s22, 1
	s_addc_u32 s23, s23, 0
	s_add_u32 s2, s2, 8
	s_addc_u32 s3, s3, 0
	s_add_u32 s6, s6, 8
	v_add3_u32 v4, v11, v7, v4
	v_sub_co_u32 v5, vcc_lo, v5, v10
	s_addc_u32 s7, s7, 0
	s_add_u32 s20, s20, 8
	v_sub_co_ci_u32_e32 v4, vcc_lo, v6, v4, vcc_lo
	s_addc_u32 s21, s21, 0
	s_waitcnt lgkmcnt(0)
	v_mul_lo_u32 v6, s0, v4
	v_mul_lo_u32 v7, s1, v5
	v_mad_u64_u32 v[1:2], null, s0, v5, v[1:2]
	v_mul_lo_u32 v4, s24, v4
	v_mul_lo_u32 v10, s25, v5
	v_mad_u64_u32 v[8:9], null, s24, v5, v[8:9]
	v_cmp_ge_u64_e64 s0, s[22:23], s[14:15]
	v_add3_u32 v2, v7, v2, v6
	v_add3_u32 v9, v10, v9, v4
	s_and_b32 vcc_lo, exec_lo, s0
	s_cbranch_vccnz .LBB0_9
; %bb.7:                                ;   in Loop: Header=BB0_2 Depth=1
	v_mov_b32_e32 v5, v12
	v_mov_b32_e32 v6, v13
	s_branch .LBB0_2
.LBB0_8:
	v_mov_b32_e32 v9, v2
	v_mov_b32_e32 v13, v6
	;; [unrolled: 1-line block ×4, first 2 shown]
.LBB0_9:
	s_load_dwordx2 s[0:1], s[4:5], 0x28
	v_mul_hi_u32 v3, 0x539782a, v0
	s_lshl_b64 s[4:5], s[14:15], 3
                                        ; implicit-def: $vgpr10
                                        ; implicit-def: $vgpr14
                                        ; implicit-def: $vgpr24
                                        ; implicit-def: $vgpr22
                                        ; implicit-def: $vgpr20
                                        ; implicit-def: $vgpr16
                                        ; implicit-def: $vgpr18
	s_add_u32 s2, s18, s4
	s_addc_u32 s3, s19, s5
	s_waitcnt lgkmcnt(0)
	v_cmp_gt_u64_e32 vcc_lo, s[0:1], v[12:13]
	v_cmp_le_u64_e64 s0, s[0:1], v[12:13]
	s_and_saveexec_b32 s1, s0
	s_xor_b32 s0, exec_lo, s1
	s_cbranch_execz .LBB0_11
; %bb.10:
	v_mul_u32_u24_e32 v1, 49, v3
	v_mov_b32_e32 v11, 0
                                        ; implicit-def: $vgpr3
	v_sub_nc_u32_e32 v10, v0, v1
	v_mov_b32_e32 v15, v11
	v_mov_b32_e32 v25, v11
	;; [unrolled: 1-line block ×4, first 2 shown]
	v_add_nc_u32_e32 v14, 49, v10
	v_add_nc_u32_e32 v24, 0x62, v10
	v_add_nc_u32_e32 v22, 0xc4, v10
	v_add_nc_u32_e32 v20, 0x126, v10
	v_add_nc_u32_e32 v16, 0x93, v10
	v_add_nc_u32_e32 v18, 0xf5, v10
	v_mov_b32_e32 v19, v11
	v_mov_b32_e32 v21, v11
                                        ; implicit-def: $vgpr0
                                        ; implicit-def: $vgpr1_vgpr2
.LBB0_11:
	s_andn2_saveexec_b32 s1, s0
	s_cbranch_execz .LBB0_13
; %bb.12:
	s_add_u32 s4, s16, s4
	s_addc_u32 s5, s17, s5
	v_lshlrev_b64 v[1:2], 2, v[1:2]
	s_load_dwordx2 s[4:5], s[4:5], 0x0
	v_mov_b32_e32 v11, 0
	v_mov_b32_e32 v15, v11
	;; [unrolled: 1-line block ×7, first 2 shown]
	s_waitcnt lgkmcnt(0)
	v_mul_lo_u32 v6, s5, v12
	v_mul_lo_u32 v7, s4, v13
	v_mad_u64_u32 v[4:5], null, s4, v12, 0
	v_add3_u32 v5, v5, v7, v6
	v_mul_u32_u24_e32 v6, 49, v3
	v_lshlrev_b64 v[3:4], 2, v[4:5]
	v_sub_nc_u32_e32 v10, v0, v6
	v_add_nc_u32_e32 v14, 49, v10
	v_add_co_u32 v0, s0, s8, v3
	v_add_co_ci_u32_e64 v3, s0, s9, v4, s0
	v_lshlrev_b32_e32 v4, 2, v10
	v_add_co_u32 v0, s0, v0, v1
	v_add_co_ci_u32_e64 v1, s0, v3, v2, s0
	v_add_nc_u32_e32 v24, 0x62, v10
	v_add_co_u32 v0, s0, v0, v4
	v_add_co_ci_u32_e64 v1, s0, 0, v1, s0
	v_add_nc_u32_e32 v16, 0x93, v10
	v_add_co_u32 v2, s0, 0x800, v0
	v_add_co_ci_u32_e64 v3, s0, 0, v1, s0
	s_clause 0xd
	global_load_dword v5, v[0:1], off
	global_load_dword v6, v[0:1], off offset:196
	global_load_dword v7, v[0:1], off offset:392
	;; [unrolled: 1-line block ×13, first 2 shown]
	v_add_nc_u32_e32 v3, 0, v4
	v_add_nc_u32_e32 v22, 0xc4, v10
	v_add_nc_u32_e32 v18, 0xf5, v10
	v_add_nc_u32_e32 v20, 0x126, v10
	v_add_nc_u32_e32 v4, 0x400, v3
	v_add_nc_u32_e32 v34, 0x600, v3
	v_add_nc_u32_e32 v35, 0x800, v3
	s_waitcnt vmcnt(12)
	ds_write2_b32 v3, v5, v6 offset1:49
	s_waitcnt vmcnt(10)
	ds_write2_b32 v3, v7, v26 offset0:98 offset1:147
	s_waitcnt vmcnt(8)
	ds_write2_b32 v3, v27, v28 offset0:196 offset1:245
	;; [unrolled: 2-line block ×6, first 2 shown]
.LBB0_13:
	s_or_b32 exec_lo, exec_lo, s1
	v_lshlrev_b32_e32 v36, 2, v10
	s_load_dwordx2 s[2:3], s[2:3], 0x0
	s_waitcnt lgkmcnt(0)
	s_barrier
	buffer_gl0_inv
	v_add_nc_u32_e32 v34, 0, v36
	v_mad_i32_i24 v35, v14, 28, 0
	v_mov_b32_e32 v53, 2
	v_mul_u32_u24_e32 v54, 6, v10
	s_add_u32 s1, s12, 0xa9c
	v_add_nc_u32_e32 v37, 0x400, v34
	v_add_nc_u32_e32 v38, 0x800, v34
	;; [unrolled: 1-line block ×3, first 2 shown]
	ds_read2_b32 v[0:1], v34 offset0:98 offset1:147
	ds_read2_b32 v[2:3], v34 offset0:196 offset1:245
	;; [unrolled: 1-line block ×6, first 2 shown]
	ds_read2_b32 v[30:31], v34 offset1:49
	v_mad_u32_u24 v32, v10, 24, v34
	s_waitcnt lgkmcnt(0)
	s_barrier
	buffer_gl0_inv
	s_addc_u32 s4, s13, 0
	s_mov_b32 s5, exec_lo
	v_pk_add_f16 v42, v0, v6
	v_pk_add_f16 v43, v2, v26
	;; [unrolled: 1-line block ×4, first 2 shown]
	v_pk_add_f16 v0, v0, v6 neg_lo:[0,1] neg_hi:[0,1]
	v_pk_add_f16 v2, v2, v26 neg_lo:[0,1] neg_hi:[0,1]
	;; [unrolled: 1-line block ×3, first 2 shown]
	v_pk_add_f16 v7, v43, v42
	v_pk_add_f16 v40, v3, v27
	v_pk_add_f16 v4, v28, v4 neg_lo:[0,1] neg_hi:[0,1]
	v_pk_add_f16 v3, v3, v27 neg_lo:[0,1] neg_hi:[0,1]
	;; [unrolled: 1-line block ×5, first 2 shown]
	v_pk_add_f16 v7, v44, v7
	v_pk_add_f16 v41, v5, v29
	v_pk_add_f16 v5, v29, v5 neg_lo:[0,1] neg_hi:[0,1]
	v_pk_add_f16 v28, v4, v2
	v_pk_add_f16 v29, v0, v4 neg_lo:[0,1] neg_hi:[0,1]
	v_pk_add_f16 v43, v44, v43 neg_lo:[0,1] neg_hi:[0,1]
	v_pk_mul_f16 v27, 0x3a52, v27 op_sel_hi:[0,1]
	v_pk_mul_f16 v26, 0x39e0, v26 op_sel_hi:[0,1]
	;; [unrolled: 1-line block ×3, first 2 shown]
	v_pk_add_f16 v30, v30, v7
	v_pk_add_f16 v2, v4, v2 neg_lo:[0,1] neg_hi:[0,1]
	v_pk_add_f16 v0, v28, v0
	v_pk_add_f16 v4, v27, v26 op_sel:[1,1] op_sel_hi:[0,0] neg_lo:[1,1] neg_hi:[1,1]
	v_pk_fma_f16 v28, 0xb574, v29, v42 op_sel_hi:[0,1,1] neg_lo:[0,1,1] neg_hi:[0,1,1]
	v_pk_fma_f16 v7, 0x3cab, v7, v30 op_sel_hi:[0,1,1] neg_lo:[0,1,0] neg_hi:[0,1,0]
	;; [unrolled: 1-line block ×4, first 2 shown]
	v_pk_mul_f16 v29, 0xb574, v29 op_sel_hi:[0,1]
	v_pk_fma_f16 v28, 0xb70e, v0, v28 op_sel_hi:[0,1,1]
	v_pk_add_f16 v4, v4, v7 op_sel:[0,1] op_sel_hi:[1,0]
	v_pk_fma_f16 v42, 0xb70e, v0, v42 op_sel_hi:[0,1,1]
	v_pk_add_f16 v26, v26, v7
	v_pk_fma_f16 v27, 0x2b26, v43, v27 op_sel_hi:[0,1,1]
	v_pk_fma_f16 v2, 0x3846, v2, v29 op_sel_hi:[0,1,1]
	v_pk_add_f16 v29, v4, v28
	v_pk_add_f16 v4, v4, v28 neg_lo:[0,1] neg_hi:[0,1]
	v_pk_add_f16 v28, v26, v42 op_sel:[0,1] op_sel_hi:[1,0] neg_lo:[0,1] neg_hi:[0,1]
	v_pk_add_f16 v26, v26, v42 op_sel:[0,1] op_sel_hi:[1,0]
	v_pk_fma_f16 v0, 0xb70e, v0, v2 op_sel_hi:[0,1,1]
	v_pk_add_f16 v2, v27, v7
	v_alignbit_b32 v7, v4, v29, 16
	v_alignbit_b32 v4, v29, v4, 16
	v_bfi_b32 v27, 0xffff, v28, v26
	v_bfi_b32 v26, 0xffff, v26, v28
	v_pk_add_f16 v6, v40, v33
	ds_write2_b32 v32, v7, v27 offset0:2 offset1:3
	ds_write2_b32 v32, v26, v4 offset0:4 offset1:5
	v_pk_add_f16 v7, v3, v1 neg_lo:[0,1] neg_hi:[0,1]
	v_pk_add_f16 v6, v41, v6
	v_pk_add_f16 v28, v2, v0 op_sel:[0,1] op_sel_hi:[1,0]
	v_pk_add_f16 v0, v2, v0 op_sel:[0,1] op_sel_hi:[1,0] neg_lo:[0,1] neg_hi:[0,1]
	v_pk_add_f16 v2, v33, v41 neg_lo:[0,1] neg_hi:[0,1]
	v_pk_add_f16 v4, v40, v33 neg_lo:[0,1] neg_hi:[0,1]
	v_pk_add_f16 v26, v5, v3
	v_pk_add_f16 v27, v1, v5 neg_lo:[0,1] neg_hi:[0,1]
	v_pk_mul_f16 v7, 0xbb00, v7 op_sel_hi:[0,1]
	v_and_b32_e32 v29, 0xff, v10
	v_pk_add_f16 v31, v31, v6
	v_pk_mul_f16 v2, 0x3a52, v2 op_sel_hi:[0,1]
	v_pk_mul_f16 v4, 0x39e0, v4 op_sel_hi:[0,1]
	v_pk_add_f16 v1, v26, v1
	v_pk_fma_f16 v33, 0xb574, v27, v7 op_sel_hi:[0,1,1] neg_lo:[0,1,1] neg_hi:[0,1,1]
	v_mul_lo_u16 v29, v29, 37
	v_pk_fma_f16 v6, 0x3cab, v6, v31 op_sel_hi:[0,1,1] neg_lo:[0,1,0] neg_hi:[0,1,0]
	v_pk_add_f16 v26, v2, v4 op_sel:[1,1] op_sel_hi:[0,0] neg_lo:[1,1] neg_hi:[1,1]
	v_bfi_b32 v42, 0xffff, v28, v0
	v_bfi_b32 v0, 0xffff, v0, v28
	v_pk_fma_f16 v28, 0xb70e, v1, v33 op_sel_hi:[0,1,1]
	v_lshrrev_b16 v29, 8, v29
	v_pk_add_f16 v33, v41, v40 neg_lo:[0,1] neg_hi:[0,1]
	v_and_b32_e32 v40, 0xff, v14
	v_pk_add_f16 v26, v26, v6 op_sel:[0,1] op_sel_hi:[1,0]
	v_pk_add_f16 v3, v5, v3 neg_lo:[0,1] neg_hi:[0,1]
	ds_write2_b32 v32, v30, v42 offset1:1
	v_sub_nc_u16 v30, v10, v29
	v_mul_lo_u16 v40, v40, 37
	v_pk_add_f16 v5, v26, v28
	v_pk_fma_f16 v4, 0x2b26, v33, v4 op_sel_hi:[0,1,1] neg_lo:[0,1,0] neg_hi:[0,1,0]
	v_pk_fma_f16 v7, 0x3846, v3, v7 op_sel_hi:[0,1,1] neg_lo:[0,1,0] neg_hi:[0,1,0]
	v_pk_add_f16 v26, v26, v28 neg_lo:[0,1] neg_hi:[0,1]
	v_lshrrev_b16 v28, 1, v30
	v_lshrrev_b16 v30, 8, v40
	v_pk_add_f16 v4, v4, v6
	v_pk_fma_f16 v7, 0xb70e, v1, v7 op_sel_hi:[0,1,1]
	v_pk_mul_f16 v27, 0xb574, v27 op_sel_hi:[0,1]
	v_and_b32_e32 v28, 0x7f, v28
	v_sub_nc_u16 v40, v14, v30
	v_pk_fma_f16 v2, 0x2b26, v33, v2 op_sel_hi:[0,1,1]
	v_pk_add_f16 v42, v4, v7 op_sel:[0,1] op_sel_hi:[1,0] neg_lo:[0,1] neg_hi:[0,1]
	v_pk_add_f16 v4, v4, v7 op_sel:[0,1] op_sel_hi:[1,0]
	v_add_nc_u16 v7, v28, v29
	v_lshrrev_b16 v29, 1, v40
	v_pk_fma_f16 v3, 0x3846, v3, v27 op_sel_hi:[0,1,1]
	v_pk_add_f16 v2, v2, v6
	ds_write_b32 v32, v0 offset:24
	v_lshrrev_b16 v28, 2, v7
	v_and_b32_e32 v7, 0x7f, v29
	v_pk_fma_f16 v1, 0xb70e, v1, v3 op_sel_hi:[0,1,1]
	v_alignbit_b32 v41, v26, v5, 16
	v_bfi_b32 v27, 0xffff, v42, v4
	v_mul_lo_u16 v0, v28, 7
	v_add_nc_u16 v3, v7, v30
	v_pk_add_f16 v6, v2, v1 op_sel:[0,1] op_sel_hi:[1,0]
	v_pk_add_f16 v1, v2, v1 op_sel:[0,1] op_sel_hi:[1,0] neg_lo:[0,1] neg_hi:[0,1]
	v_bfi_b32 v2, 0xffff, v4, v42
	v_sub_nc_u16 v29, v10, v0
	v_lshrrev_b16 v30, 2, v3
	v_mov_b32_e32 v0, 6
	v_alignbit_b32 v3, v5, v26, 16
	v_bfi_b32 v4, 0xffff, v6, v1
	ds_write2_b32 v35, v41, v27 offset0:2 offset1:3
	v_mul_lo_u16 v5, v30, 7
	v_mul_u32_u24_sdwa v7, v29, v0 dst_sel:DWORD dst_unused:UNUSED_PAD src0_sel:BYTE_0 src1_sel:DWORD
	ds_write2_b32 v35, v2, v3 offset0:4 offset1:5
	ds_write2_b32 v35, v31, v4 offset1:1
	v_bfi_b32 v1, 0xffff, v1, v6
	v_lshl_add_u32 v42, v24, 2, 0
	v_sub_nc_u16 v31, v14, v5
	v_lshlrev_b32_e32 v26, 2, v7
	v_lshl_add_u32 v41, v22, 2, 0
	ds_write_b32 v35, v1 offset:24
	s_waitcnt lgkmcnt(0)
	v_mul_u32_u24_sdwa v0, v31, v0 dst_sel:DWORD dst_unused:UNUSED_PAD src0_sel:BYTE_0 src1_sel:DWORD
	s_barrier
	buffer_gl0_inv
	global_load_dwordx4 v[4:7], v26, s[12:13]
	v_lshl_add_u32 v40, v20, 2, 0
	v_lshlrev_b32_e32 v32, 2, v0
	s_clause 0x2
	global_load_dwordx4 v[0:3], v32, s[12:13]
	global_load_dwordx2 v[26:27], v26, s[12:13] offset:16
	global_load_dwordx2 v[32:33], v32, s[12:13] offset:16
	v_add_nc_u32_e32 v44, 0x200, v34
	ds_read_b32 v56, v42
	ds_read_b32 v57, v41
	;; [unrolled: 1-line block ×3, first 2 shown]
	ds_read2_b32 v[45:46], v37 offset0:136 offset1:185
	ds_read2_b32 v[47:48], v44 offset0:117 offset1:215
	v_mov_b32_e32 v43, 0xc4
	v_lshlrev_b32_sdwa v59, v53, v29 dst_sel:DWORD dst_unused:UNUSED_PAD src0_sel:DWORD src1_sel:BYTE_0
	v_lshlrev_b32_sdwa v31, v53, v31 dst_sel:DWORD dst_unused:UNUSED_PAD src0_sel:DWORD src1_sel:BYTE_0
	v_lshlrev_b32_e32 v53, 2, v54
	v_lshlrev_b64 v[22:23], 2, v[22:23]
	v_mul_u32_u24_sdwa v55, v28, v43 dst_sel:DWORD dst_unused:UNUSED_PAD src0_sel:WORD_0 src1_sel:DWORD
	ds_read2_b32 v[28:29], v34 offset1:147
	ds_read2_b32 v[49:50], v39 offset0:106 offset1:155
	ds_read2_b32 v[51:52], v38 offset0:76 offset1:125
	v_mul_u32_u24_sdwa v30, v30, v43 dst_sel:DWORD dst_unused:UNUSED_PAD src0_sel:WORD_0 src1_sel:DWORD
	v_mad_i32_i24 v43, 0xffffffe8, v14, v35
	v_add3_u32 v54, 0, v55, v59
	v_add3_u32 v30, 0, v30, v31
	ds_read_b32 v31, v43
	s_waitcnt vmcnt(0) lgkmcnt(0)
	v_lshrrev_b32_e32 v55, 16, v56
	v_lshrrev_b32_e32 v59, 16, v57
	;; [unrolled: 1-line block ×7, first 2 shown]
	s_barrier
	buffer_gl0_inv
	v_lshrrev_b32_e32 v65, 16, v29
	v_lshrrev_b32_e32 v66, 16, v49
	;; [unrolled: 1-line block ×5, first 2 shown]
	v_mul_f16_sdwa v70, v4, v55 dst_sel:DWORD dst_unused:UNUSED_PAD src0_sel:WORD_1 src1_sel:DWORD
	v_mul_f16_sdwa v71, v4, v56 dst_sel:DWORD dst_unused:UNUSED_PAD src0_sel:WORD_1 src1_sel:DWORD
	;; [unrolled: 1-line block ×8, first 2 shown]
	v_mul_f16_sdwa v78, v62, v1 dst_sel:DWORD dst_unused:UNUSED_PAD src0_sel:DWORD src1_sel:WORD_1
	v_fmac_f16_e32 v70, v4, v56
	v_mul_f16_sdwa v56, v47, v1 dst_sel:DWORD dst_unused:UNUSED_PAD src0_sel:DWORD src1_sel:WORD_1
	v_mul_f16_sdwa v79, v63, v2 dst_sel:DWORD dst_unused:UNUSED_PAD src0_sel:DWORD src1_sel:WORD_1
	v_fma_f16 v4, v4, v55, -v71
	v_fmac_f16_e32 v72, v5, v57
	v_mul_f16_sdwa v57, v64, v3 dst_sel:DWORD dst_unused:UNUSED_PAD src0_sel:DWORD src1_sel:WORD_1
	v_fma_f16 v5, v5, v59, -v73
	v_fmac_f16_e32 v74, v6, v58
	v_mul_f16_sdwa v58, v29, v0 dst_sel:DWORD dst_unused:UNUSED_PAD src0_sel:DWORD src1_sel:WORD_1
	v_fma_f16 v6, v6, v60, -v75
	v_mul_f16_sdwa v60, v65, v0 dst_sel:DWORD dst_unused:UNUSED_PAD src0_sel:DWORD src1_sel:WORD_1
	v_fma_f16 v61, v7, v61, -v76
	v_mul_f16_sdwa v71, v49, v26 dst_sel:DWORD dst_unused:UNUSED_PAD src0_sel:DWORD src1_sel:WORD_1
	v_fmac_f16_e32 v77, v7, v45
	v_mul_f16_sdwa v7, v66, v26 dst_sel:DWORD dst_unused:UNUSED_PAD src0_sel:DWORD src1_sel:WORD_1
	v_mul_f16_sdwa v45, v51, v27 dst_sel:DWORD dst_unused:UNUSED_PAD src0_sel:DWORD src1_sel:WORD_1
	;; [unrolled: 1-line block ×3, first 2 shown]
	v_fmac_f16_e32 v78, v47, v1
	v_mul_f16_sdwa v47, v50, v32 dst_sel:DWORD dst_unused:UNUSED_PAD src0_sel:DWORD src1_sel:WORD_1
	v_fma_f16 v1, v62, v1, -v56
	v_mul_f16_sdwa v56, v52, v33 dst_sel:DWORD dst_unused:UNUSED_PAD src0_sel:DWORD src1_sel:WORD_1
	v_mul_f16_sdwa v55, v48, v2 dst_sel:DWORD dst_unused:UNUSED_PAD src0_sel:DWORD src1_sel:WORD_1
	v_mul_f16_sdwa v59, v46, v3 dst_sel:DWORD dst_unused:UNUSED_PAD src0_sel:DWORD src1_sel:WORD_1
	v_mul_f16_sdwa v75, v68, v32 dst_sel:DWORD dst_unused:UNUSED_PAD src0_sel:DWORD src1_sel:WORD_1
	v_fmac_f16_e32 v79, v48, v2
	v_mul_f16_sdwa v48, v69, v33 dst_sel:DWORD dst_unused:UNUSED_PAD src0_sel:DWORD src1_sel:WORD_1
	v_fmac_f16_e32 v57, v46, v3
	v_fma_f16 v46, v65, v0, -v58
	v_fmac_f16_e32 v60, v29, v0
	v_fma_f16 v0, v66, v26, -v71
	v_fma_f16 v29, v67, v27, -v45
	v_fmac_f16_e32 v7, v49, v26
	v_fmac_f16_e32 v73, v51, v27
	v_fma_f16 v26, v68, v32, -v47
	v_fma_f16 v27, v69, v33, -v56
	;; [unrolled: 1-line block ×4, first 2 shown]
	v_fmac_f16_e32 v75, v50, v32
	v_fmac_f16_e32 v48, v52, v33
	v_add_f16_e32 v32, v70, v73
	v_add_f16_e32 v45, v4, v29
	v_sub_f16_e32 v4, v4, v29
	v_add_f16_e32 v29, v72, v7
	v_add_f16_e32 v47, v5, v0
	v_sub_f16_e32 v0, v5, v0
	v_add_f16_e32 v5, v74, v77
	v_add_f16_e32 v50, v6, v61
	v_sub_f16_e32 v6, v61, v6
	v_add_f16_e32 v52, v46, v27
	v_add_f16_e32 v56, v1, v26
	v_sub_f16_e32 v7, v72, v7
	v_sub_f16_e32 v49, v77, v74
	v_add_f16_e32 v51, v60, v48
	v_sub_f16_e32 v27, v46, v27
	v_add_f16_e32 v46, v78, v75
	;; [unrolled: 2-line block ×3, first 2 shown]
	v_add_f16_e32 v58, v2, v3
	v_sub_f16_e32 v2, v3, v2
	v_sub_f16_e32 v33, v70, v73
	v_sub_f16_e32 v48, v60, v48
	v_add_f16_e32 v3, v29, v32
	v_sub_f16_e32 v59, v29, v32
	v_sub_f16_e32 v32, v32, v5
	v_sub_f16_e32 v29, v5, v29
	;; [unrolled: 4-line block ×3, first 2 shown]
	v_add_f16_e32 v64, v6, v0
	v_sub_f16_e32 v65, v6, v0
	v_sub_f16_e32 v0, v0, v4
	v_add_f16_e32 v68, v56, v52
	v_sub_f16_e32 v55, v78, v75
	v_sub_f16_e32 v57, v57, v79
	v_add_f16_e32 v62, v49, v7
	v_sub_f16_e32 v63, v49, v7
	v_add_f16_e32 v66, v46, v51
	v_sub_f16_e32 v67, v46, v51
	v_sub_f16_e32 v46, v26, v46
	v_add_f16_e32 v72, v2, v1
	v_sub_f16_e32 v73, v2, v1
	v_sub_f16_e32 v1, v1, v27
	;; [unrolled: 1-line block ×7, first 2 shown]
	v_add_f16_e32 v3, v5, v3
	v_add_f16_e32 v5, v50, v60
	;; [unrolled: 1-line block ×4, first 2 shown]
	v_mul_f16_e32 v32, 0x3a52, v32
	v_mul_f16_e32 v58, 0x2b26, v29
	;; [unrolled: 1-line block ×6, first 2 shown]
	v_sub_f16_e32 v49, v33, v49
	v_sub_f16_e32 v51, v51, v26
	v_add_f16_e32 v70, v57, v55
	v_sub_f16_e32 v71, v57, v55
	v_sub_f16_e32 v55, v55, v48
	v_sub_f16_e32 v2, v27, v2
	v_add_f16_e32 v33, v62, v33
	v_add_f16_e32 v26, v26, v66
	v_add_f16_e32 v27, v72, v27
	v_mul_f16_e32 v62, 0x3846, v63
	v_mul_f16_e32 v66, 0x2b26, v46
	;; [unrolled: 1-line block ×5, first 2 shown]
	v_add_f16_e32 v74, v3, v28
	v_add_f16_sdwa v28, v5, v28 dst_sel:DWORD dst_unused:UNUSED_PAD src0_sel:DWORD src1_sel:WORD_1
	v_fmamk_f16 v29, v29, 0x2b26, v32
	v_fma_f16 v58, v59, 0x39e0, -v58
	v_fma_f16 v32, v59, 0xb9e0, -v32
	v_fmamk_f16 v47, v47, 0x2b26, v45
	v_fma_f16 v59, v61, 0x39e0, -v60
	v_fma_f16 v45, v61, 0xb9e0, -v45
	;; [unrolled: 1-line block ×3, first 2 shown]
	v_fmamk_f16 v61, v6, 0xb574, v64
	v_fma_f16 v6, v6, 0x3574, -v65
	v_sub_f16_e32 v57, v48, v57
	v_add_f16_e32 v48, v70, v48
	v_mul_f16_e32 v51, 0x3a52, v51
	v_mul_f16_e32 v52, 0x3a52, v52
	;; [unrolled: 1-line block ×5, first 2 shown]
	v_fma_f16 v7, v7, 0xbb00, -v62
	v_fmamk_f16 v60, v49, 0xb574, v62
	v_fma_f16 v62, v67, 0x39e0, -v66
	v_fma_f16 v1, v1, 0xbb00, -v72
	v_fmamk_f16 v65, v2, 0xb574, v72
	v_fma_f16 v2, v2, 0x3574, -v73
	v_add_f16_e32 v66, v26, v31
	v_add_f16_sdwa v31, v50, v31 dst_sel:DWORD dst_unused:UNUSED_PAD src0_sel:DWORD src1_sel:WORD_1
	v_fma_f16 v49, v49, 0x3574, -v63
	v_fmac_f16_e32 v61, 0xb70e, v4
	v_fmac_f16_e32 v0, 0xb70e, v4
	;; [unrolled: 1-line block ×3, first 2 shown]
	v_fmamk_f16 v3, v3, 0xbcab, v74
	v_fmamk_f16 v4, v5, 0xbcab, v28
	v_fmamk_f16 v46, v46, 0x2b26, v51
	v_fma_f16 v51, v67, 0xb9e0, -v51
	v_fmamk_f16 v56, v56, 0x2b26, v52
	v_fma_f16 v63, v69, 0x39e0, -v68
	v_fma_f16 v52, v69, 0xb9e0, -v52
	;; [unrolled: 1-line block ×3, first 2 shown]
	v_fmamk_f16 v64, v57, 0xb574, v70
	v_fma_f16 v57, v57, 0x3574, -v71
	v_fmac_f16_e32 v65, 0xb70e, v27
	v_fmac_f16_e32 v1, 0xb70e, v27
	v_fmac_f16_e32 v2, 0xb70e, v27
	v_fmamk_f16 v26, v26, 0xbcab, v66
	v_fmamk_f16 v27, v50, 0xbcab, v31
	v_fmac_f16_e32 v60, 0xb70e, v33
	v_fmac_f16_e32 v7, 0xb70e, v33
	;; [unrolled: 1-line block ×3, first 2 shown]
	v_pack_b32_f16 v5, v74, v28
	v_pack_b32_f16 v28, v66, v31
	v_add_f16_e32 v29, v29, v3
	v_add_f16_e32 v31, v58, v3
	v_add_f16_e32 v3, v32, v3
	v_add_f16_e32 v32, v47, v4
	v_add_f16_e32 v33, v59, v4
	v_add_f16_e32 v4, v45, v4
	v_fmac_f16_e32 v64, 0xb70e, v48
	v_fmac_f16_e32 v55, 0xb70e, v48
	;; [unrolled: 1-line block ×3, first 2 shown]
	v_add_f16_e32 v45, v46, v26
	v_add_f16_e32 v46, v62, v26
	;; [unrolled: 1-line block ×6, first 2 shown]
	v_sub_f16_e32 v50, v31, v0
	v_add_f16_e32 v0, v0, v31
	v_add_f16_e32 v31, v7, v33
	v_sub_f16_e32 v7, v33, v7
	v_add_f16_e32 v33, v6, v3
	v_sub_f16_e32 v3, v3, v6
	v_sub_f16_e32 v6, v4, v49
	v_add_f16_e32 v4, v49, v4
	v_add_f16_e32 v49, v61, v29
	v_sub_f16_e32 v51, v32, v60
	v_sub_f16_e32 v29, v29, v61
	v_add_f16_e32 v32, v60, v32
	v_sub_f16_e32 v52, v46, v1
	v_add_f16_e32 v1, v1, v46
	v_add_f16_e32 v46, v55, v48
	v_sub_f16_e32 v48, v48, v55
	v_add_f16_e32 v55, v2, v26
	v_sub_f16_e32 v2, v26, v2
	v_sub_f16_e32 v26, v27, v57
	v_add_f16_e32 v27, v57, v27
	v_add_f16_e32 v56, v65, v45
	v_sub_f16_e32 v45, v45, v65
	v_sub_f16_e32 v57, v47, v64
	v_add_f16_e32 v47, v64, v47
	v_pack_b32_f16 v49, v49, v51
	v_pack_b32_f16 v6, v33, v6
	v_pack_b32_f16 v31, v50, v31
	v_pack_b32_f16 v0, v0, v7
	v_pack_b32_f16 v3, v3, v4
	v_pack_b32_f16 v4, v29, v32
	v_pack_b32_f16 v7, v56, v57
	v_pack_b32_f16 v26, v55, v26
	v_pack_b32_f16 v1, v1, v48
	v_pack_b32_f16 v2, v2, v27
	v_pack_b32_f16 v27, v45, v47
	v_pack_b32_f16 v29, v52, v46
	ds_write2_b32 v54, v5, v49 offset1:7
	ds_write2_b32 v54, v6, v31 offset0:14 offset1:21
	ds_write2_b32 v54, v0, v3 offset0:28 offset1:35
	ds_write_b32 v54, v4 offset:168
	ds_write2_b32 v30, v28, v7 offset1:7
	ds_write2_b32 v30, v26, v29 offset0:14 offset1:21
	ds_write2_b32 v30, v1, v2 offset0:28 offset1:35
	ds_write_b32 v30, v27 offset:168
	s_waitcnt lgkmcnt(0)
	s_barrier
	buffer_gl0_inv
	s_clause 0x1
	global_load_dwordx4 v[0:3], v53, s[12:13] offset:168
	global_load_dwordx2 v[26:27], v53, s[12:13] offset:184
	v_lshlrev_b64 v[32:33], 2, v[10:11]
	v_lshlrev_b64 v[30:31], 2, v[14:15]
	;; [unrolled: 1-line block ×6, first 2 shown]
	ds_read2_b32 v[19:20], v44 offset0:117 offset1:215
	ds_read2_b32 v[44:45], v37 offset0:136 offset1:185
	ds_read_b32 v11, v42
	ds_read_b32 v15, v41
	;; [unrolled: 1-line block ×3, first 2 shown]
	ds_read2_b32 v[46:47], v34 offset1:147
	ds_read2_b32 v[48:49], v39 offset0:106 offset1:155
	ds_read2_b32 v[52:53], v38 offset0:76 offset1:125
	ds_read_b32 v21, v43
	v_add_co_u32 v50, s0, s12, v32
	v_add_co_ci_u32_e64 v51, s0, s13, v33, s0
	v_add_co_u32 v54, s0, s12, v28
	v_add_co_ci_u32_e64 v55, s0, s13, v29, s0
	;; [unrolled: 2-line block ×3, first 2 shown]
	s_waitcnt lgkmcnt(8)
	v_lshrrev_b32_e32 v58, 16, v19
	v_lshrrev_b32_e32 v59, 16, v20
	s_waitcnt lgkmcnt(7)
	v_lshrrev_b32_e32 v61, 16, v45
	v_lshrrev_b32_e32 v64, 16, v44
	s_waitcnt lgkmcnt(6)
	v_lshrrev_b32_e32 v60, 16, v11
	s_waitcnt lgkmcnt(5)
	;; [unrolled: 2-line block ×5, first 2 shown]
	v_lshrrev_b32_e32 v66, 16, v48
	v_lshrrev_b32_e32 v67, 16, v49
	s_waitcnt lgkmcnt(1)
	v_lshrrev_b32_e32 v68, 16, v52
	s_waitcnt vmcnt(0) lgkmcnt(0)
	s_barrier
	buffer_gl0_inv
	v_mul_f16_sdwa v71, v58, v1 dst_sel:DWORD dst_unused:UNUSED_PAD src0_sel:DWORD src1_sel:WORD_1
	v_mul_f16_sdwa v72, v59, v2 dst_sel:DWORD dst_unused:UNUSED_PAD src0_sel:DWORD src1_sel:WORD_1
	v_mul_f16_sdwa v73, v3, v64 dst_sel:DWORD dst_unused:UNUSED_PAD src0_sel:WORD_1 src1_sel:DWORD
	v_mul_f16_sdwa v75, v61, v3 dst_sel:DWORD dst_unused:UNUSED_PAD src0_sel:DWORD src1_sel:WORD_1
	v_mul_f16_sdwa v69, v0, v60 dst_sel:DWORD dst_unused:UNUSED_PAD src0_sel:WORD_1 src1_sel:DWORD
	v_mul_f16_sdwa v70, v0, v11 dst_sel:DWORD dst_unused:UNUSED_PAD src0_sel:WORD_1 src1_sel:DWORD
	v_mul_f16_sdwa v74, v19, v1 dst_sel:DWORD dst_unused:UNUSED_PAD src0_sel:DWORD src1_sel:WORD_1
	v_fmac_f16_e32 v71, v19, v1
	v_fmac_f16_e32 v72, v20, v2
	v_mul_f16_sdwa v19, v20, v2 dst_sel:DWORD dst_unused:UNUSED_PAD src0_sel:DWORD src1_sel:WORD_1
	v_mul_f16_sdwa v20, v3, v44 dst_sel:DWORD dst_unused:UNUSED_PAD src0_sel:WORD_1 src1_sel:DWORD
	v_fmac_f16_e32 v73, v3, v44
	v_fmac_f16_e32 v75, v45, v3
	v_mul_f16_sdwa v44, v45, v3 dst_sel:DWORD dst_unused:UNUSED_PAD src0_sel:DWORD src1_sel:WORD_1
	v_mul_f16_sdwa v45, v1, v62 dst_sel:DWORD dst_unused:UNUSED_PAD src0_sel:WORD_1 src1_sel:DWORD
	v_fmac_f16_e32 v69, v0, v11
	v_mul_f16_sdwa v11, v1, v15 dst_sel:DWORD dst_unused:UNUSED_PAD src0_sel:WORD_1 src1_sel:DWORD
	v_fma_f16 v60, v0, v60, -v70
	v_mul_f16_sdwa v70, v2, v63 dst_sel:DWORD dst_unused:UNUSED_PAD src0_sel:WORD_1 src1_sel:DWORD
	v_fmac_f16_e32 v45, v1, v15
	v_mul_f16_sdwa v15, v2, v17 dst_sel:DWORD dst_unused:UNUSED_PAD src0_sel:WORD_1 src1_sel:DWORD
	v_fma_f16 v11, v1, v62, -v11
	v_lshrrev_b32_e32 v62, 16, v53
	v_fmac_f16_e32 v70, v2, v17
	v_mul_f16_sdwa v17, v47, v0 dst_sel:DWORD dst_unused:UNUSED_PAD src0_sel:DWORD src1_sel:WORD_1
	v_fma_f16 v15, v2, v63, -v15
	v_mul_f16_sdwa v63, v65, v0 dst_sel:DWORD dst_unused:UNUSED_PAD src0_sel:DWORD src1_sel:WORD_1
	v_fma_f16 v20, v3, v64, -v20
	v_mul_f16_sdwa v64, v26, v66 dst_sel:DWORD dst_unused:UNUSED_PAD src0_sel:WORD_1 src1_sel:DWORD
	v_fma_f16 v1, v58, v1, -v74
	v_mul_f16_sdwa v58, v67, v26 dst_sel:DWORD dst_unused:UNUSED_PAD src0_sel:DWORD src1_sel:WORD_1
	v_fma_f16 v2, v59, v2, -v19
	v_mul_f16_sdwa v19, v26, v48 dst_sel:DWORD dst_unused:UNUSED_PAD src0_sel:WORD_1 src1_sel:DWORD
	v_fma_f16 v17, v65, v0, -v17
	v_fma_f16 v3, v61, v3, -v44
	v_mul_f16_sdwa v44, v68, v27 dst_sel:DWORD dst_unused:UNUSED_PAD src0_sel:DWORD src1_sel:WORD_1
	v_fmac_f16_e32 v63, v47, v0
	v_mul_f16_sdwa v0, v62, v27 dst_sel:DWORD dst_unused:UNUSED_PAD src0_sel:DWORD src1_sel:WORD_1
	v_mul_f16_sdwa v47, v52, v27 dst_sel:DWORD dst_unused:UNUSED_PAD src0_sel:DWORD src1_sel:WORD_1
	;; [unrolled: 1-line block ×4, first 2 shown]
	v_fmac_f16_e32 v64, v26, v48
	v_fmac_f16_e32 v58, v49, v26
	;; [unrolled: 1-line block ×4, first 2 shown]
	v_fma_f16 v47, v68, v27, -v47
	v_fma_f16 v19, v26, v66, -v19
	;; [unrolled: 1-line block ×4, first 2 shown]
	v_add_f16_e32 v48, v69, v44
	v_add_f16_e32 v49, v60, v47
	v_sub_f16_e32 v47, v60, v47
	v_add_f16_e32 v52, v45, v64
	v_add_f16_e32 v53, v11, v19
	v_sub_f16_e32 v45, v45, v64
	v_sub_f16_e32 v11, v11, v19
	v_add_f16_e32 v19, v70, v73
	v_add_f16_e32 v59, v15, v20
	v_sub_f16_e32 v60, v73, v70
	;; [unrolled: 4-line block ×3, first 2 shown]
	v_add_f16_e32 v27, v71, v58
	v_sub_f16_e32 v44, v69, v44
	v_sub_f16_e32 v0, v63, v0
	v_add_f16_e32 v62, v1, v26
	v_sub_f16_e32 v58, v71, v58
	v_sub_f16_e32 v1, v1, v26
	v_add_f16_e32 v26, v72, v75
	v_add_f16_e32 v63, v2, v3
	v_sub_f16_e32 v64, v75, v72
	v_sub_f16_e32 v2, v3, v2
	v_add_f16_e32 v3, v52, v48
	v_sub_f16_e32 v66, v52, v48
	v_sub_f16_e32 v52, v19, v52
	v_add_f16_e32 v68, v60, v45
	v_add_f16_e32 v70, v15, v11
	;; [unrolled: 1-line block ×4, first 2 shown]
	v_sub_f16_e32 v48, v48, v19
	v_sub_f16_e32 v69, v60, v45
	;; [unrolled: 1-line block ×10, first 2 shown]
	v_add_f16_e32 v74, v62, v61
	v_add_f16_e32 v75, v19, v3
	v_sub_f16_e32 v3, v62, v61
	v_sub_f16_e32 v19, v61, v63
	;; [unrolled: 1-line block ×3, first 2 shown]
	v_add_f16_e32 v62, v64, v58
	v_add_f16_e32 v44, v68, v44
	;; [unrolled: 1-line block ×5, first 2 shown]
	v_sub_f16_e32 v70, v2, v1
	v_sub_f16_e32 v72, v1, v17
	v_mul_f16_e32 v1, 0x2b26, v52
	v_sub_f16_e32 v67, v53, v49
	v_sub_f16_e32 v49, v49, v59
	;; [unrolled: 1-line block ×3, first 2 shown]
	v_add_f16_e32 v59, v59, v65
	v_sub_f16_e32 v65, v64, v58
	v_sub_f16_e32 v64, v0, v64
	;; [unrolled: 1-line block ×3, first 2 shown]
	v_add_f16_e32 v62, v62, v0
	v_mul_f16_e32 v0, 0x3a52, v48
	v_fma_f16 v76, v66, 0x39e0, -v1
	v_mul_f16_e32 v1, 0x3a52, v20
	v_mul_f16_e32 v20, 0x2b26, v27
	v_sub_f16_e32 v2, v17, v2
	v_mul_f16_e32 v71, 0x3846, v71
	v_fmamk_f16 v52, v52, 0x2b26, v0
	v_fma_f16 v66, v66, 0xb9e0, -v0
	v_mul_f16_e32 v0, 0xbb00, v11
	v_mul_f16_e32 v70, 0x3846, v70
	v_fma_f16 v77, v73, 0x39e0, -v20
	v_mul_f16_e32 v20, 0xbb00, v72
	v_add_f16_e32 v63, v63, v74
	v_add_f16_e32 v17, v68, v17
	v_mul_f16_e32 v48, 0x3a52, v49
	v_mul_f16_e32 v49, 0x2b26, v53
	;; [unrolled: 1-line block ×5, first 2 shown]
	v_fma_f16 v11, v11, 0xbb00, -v71
	v_fmamk_f16 v71, v15, 0xb574, v71
	v_fma_f16 v15, v15, 0x3574, -v0
	v_mul_f16_e32 v0, 0xbb00, v58
	v_fma_f16 v72, v72, 0xbb00, -v70
	v_fmamk_f16 v70, v2, 0xb574, v70
	v_fma_f16 v79, v2, 0x3574, -v20
	v_add_f16_e32 v69, v75, v46
	v_add_f16_sdwa v46, v59, v46 dst_sel:DWORD dst_unused:UNUSED_PAD src0_sel:DWORD src1_sel:WORD_1
	v_fmamk_f16 v53, v53, 0x2b26, v48
	v_fma_f16 v49, v67, 0x39e0, -v49
	v_fma_f16 v48, v67, 0xb9e0, -v48
	;; [unrolled: 1-line block ×3, first 2 shown]
	v_fmamk_f16 v67, v60, 0xb574, v68
	v_fma_f16 v60, v60, 0x3574, -v74
	v_mul_f16_e32 v19, 0x3a52, v19
	v_mul_f16_e32 v68, 0x2b26, v61
	v_fma_f16 v58, v58, 0xbb00, -v65
	v_fmamk_f16 v65, v64, 0xb574, v65
	v_fma_f16 v64, v64, 0x3574, -v0
	v_fmac_f16_e32 v70, 0xb70e, v17
	v_fmac_f16_e32 v72, 0xb70e, v17
	;; [unrolled: 1-line block ×3, first 2 shown]
	v_add_f16_e32 v17, v26, v21
	v_add_f16_sdwa v21, v63, v21 dst_sel:DWORD dst_unused:UNUSED_PAD src0_sel:DWORD src1_sel:WORD_1
	v_fmac_f16_e32 v67, 0xb70e, v44
	v_fmac_f16_e32 v45, 0xb70e, v44
	;; [unrolled: 1-line block ×6, first 2 shown]
	v_fmamk_f16 v44, v75, 0xbcab, v69
	v_fmamk_f16 v47, v59, 0xbcab, v46
	;; [unrolled: 1-line block ×3, first 2 shown]
	v_fma_f16 v73, v73, 0xb9e0, -v1
	v_fmamk_f16 v61, v61, 0x2b26, v19
	v_fma_f16 v68, v3, 0x39e0, -v68
	v_fma_f16 v78, v3, 0xb9e0, -v19
	v_fmac_f16_e32 v65, 0xb70e, v62
	v_fmac_f16_e32 v58, 0xb70e, v62
	;; [unrolled: 1-line block ×3, first 2 shown]
	v_fmamk_f16 v59, v26, 0xbcab, v17
	v_fmamk_f16 v62, v63, 0xbcab, v21
	v_pack_b32_f16 v17, v17, v21
	v_add_f16_e32 v21, v52, v44
	v_add_f16_e32 v52, v76, v44
	v_add_f16_e32 v44, v66, v44
	v_add_f16_e32 v53, v53, v47
	v_add_f16_e32 v49, v49, v47
	v_add_f16_e32 v47, v48, v47
	v_add_co_u32 v0, s0, s12, v6
	v_add_f16_e32 v48, v74, v59
	v_add_f16_e32 v63, v77, v59
	;; [unrolled: 1-line block ×6, first 2 shown]
	v_pack_b32_f16 v46, v69, v46
	v_sub_f16_e32 v68, v52, v11
	v_add_f16_e32 v11, v11, v52
	v_add_f16_e32 v52, v45, v49
	v_sub_f16_e32 v45, v49, v45
	v_add_f16_e32 v49, v15, v44
	v_sub_f16_e32 v15, v44, v15
	v_sub_f16_e32 v44, v47, v60
	v_add_f16_e32 v47, v60, v47
	v_add_f16_e32 v60, v71, v21
	v_sub_f16_e32 v69, v53, v67
	v_add_co_ci_u32_e64 v1, s0, s13, v7, s0
	v_add_co_u32 v2, s0, s12, v4
	v_sub_f16_e32 v21, v21, v71
	v_add_f16_e32 v53, v67, v53
	v_add_co_ci_u32_e64 v3, s0, s13, v5, s0
	v_sub_f16_e32 v67, v63, v72
	v_add_f16_e32 v63, v72, v63
	v_add_f16_e32 v71, v58, v66
	v_sub_f16_e32 v58, v66, v58
	v_add_f16_e32 v66, v79, v59
	v_sub_f16_e32 v72, v62, v64
	v_add_f16_e32 v62, v64, v62
	v_add_f16_e32 v64, v70, v48
	v_sub_f16_e32 v48, v48, v70
	v_sub_f16_e32 v70, v61, v65
	v_add_co_u32 v19, s0, s12, v24
	v_sub_f16_e32 v59, v59, v79
	v_add_f16_e32 v61, v65, v61
	v_pack_b32_f16 v60, v60, v69
	v_pack_b32_f16 v44, v49, v44
	;; [unrolled: 1-line block ×3, first 2 shown]
	v_add_co_ci_u32_e64 v20, s0, s13, v25, s0
	v_pack_b32_f16 v11, v11, v45
	v_pack_b32_f16 v15, v15, v47
	v_add_co_u32 v26, s0, s12, v30
	v_pack_b32_f16 v21, v21, v53
	v_pack_b32_f16 v45, v64, v70
	;; [unrolled: 1-line block ×3, first 2 shown]
	v_add_co_ci_u32_e64 v27, s0, s13, v31, s0
	v_pack_b32_f16 v52, v67, v71
	v_pack_b32_f16 v53, v63, v58
	;; [unrolled: 1-line block ×4, first 2 shown]
	ds_write2_b32 v34, v46, v60 offset1:49
	ds_write2_b32 v34, v44, v49 offset0:98 offset1:147
	ds_write2_b32 v34, v11, v15 offset0:196 offset1:245
	;; [unrolled: 1-line block ×6, first 2 shown]
	s_waitcnt lgkmcnt(0)
	s_barrier
	buffer_gl0_inv
	s_clause 0x6
	global_load_dword v11, v[2:3], off offset:1344
	global_load_dword v15, v[0:1], off offset:1344
	;; [unrolled: 1-line block ×7, first 2 shown]
	ds_read2_b32 v[2:3], v38 offset0:27 offset1:76
	ds_read_u16 v38, v34 offset:2158
	ds_read2_b32 v[19:20], v37 offset0:87 offset1:136
	ds_read_b32 v46, v34 offset:2548
	ds_read2_b32 v[26:27], v37 offset0:185 offset1:234
	v_lshl_add_u32 v0, v18, 2, 0
	v_lshl_add_u32 v1, v16, 2, 0
	ds_read_b32 v16, v40
	ds_read_b32 v18, v0
	;; [unrolled: 1-line block ×7, first 2 shown]
	s_waitcnt vmcnt(0) lgkmcnt(0)
	s_barrier
	buffer_gl0_inv
	v_pk_mul_f16 v53, v46, v11 op_sel:[0,1]
	v_pk_mul_f16 v51, v3, v15 op_sel:[0,1]
	v_pk_mul_f16 v38, v38, v17 op_sel_hi:[0,1]
	v_pk_mul_f16 v52, v21, v19 op_sel:[0,1]
	v_pk_mul_f16 v54, v39, v27 op_sel:[0,1]
	;; [unrolled: 1-line block ×4, first 2 shown]
	v_pk_fma_f16 v57, v3, v15, v51 op_sel:[0,0,1] op_sel_hi:[1,1,0]
	v_pk_fma_f16 v3, v3, v15, v51 op_sel:[0,0,1] op_sel_hi:[1,0,0] neg_lo:[0,0,1] neg_hi:[0,0,1]
	v_pk_fma_f16 v15, v17, v2, v38 op_sel:[0,0,1] op_sel_hi:[1,1,0]
	v_pk_fma_f16 v2, v17, v2, v38 op_sel:[0,0,1] op_sel_hi:[1,0,0] neg_lo:[1,0,0] neg_hi:[1,0,0]
	;; [unrolled: 2-line block ×7, first 2 shown]
	v_bfi_b32 v19, 0xffff, v38, v19
	v_bfi_b32 v3, 0xffff, v57, v3
	;; [unrolled: 1-line block ×7, first 2 shown]
	v_pk_add_f16 v19, v49, v19 neg_lo:[0,1] neg_hi:[0,1]
	v_pk_add_f16 v20, v50, v20 neg_lo:[0,1] neg_hi:[0,1]
	;; [unrolled: 1-line block ×7, first 2 shown]
	v_pk_fma_f16 v21, v49, 2.0, v19 op_sel_hi:[1,0,1] neg_lo:[0,0,1] neg_hi:[0,0,1]
	v_pk_fma_f16 v27, v50, 2.0, v20 op_sel_hi:[1,0,1] neg_lo:[0,0,1] neg_hi:[0,0,1]
	;; [unrolled: 1-line block ×7, first 2 shown]
	ds_write_b32 v34, v19 offset:1372
	ds_write_b32 v34, v21
	ds_write_b32 v43, v27
	ds_write_b32 v43, v20 offset:1372
	ds_write_b32 v42, v38
	ds_write_b32 v42, v17 offset:1372
	;; [unrolled: 2-line block ×6, first 2 shown]
	s_waitcnt lgkmcnt(0)
	s_barrier
	buffer_gl0_inv
	ds_read_b32 v16, v34
	v_sub_nc_u32_e32 v2, 0, v36
                                        ; implicit-def: $vgpr15
                                        ; implicit-def: $vgpr3
                                        ; implicit-def: $vgpr11
	v_cmpx_ne_u32_e32 0, v10
	s_xor_b32 s5, exec_lo, s5
	s_cbranch_execz .LBB0_15
; %bb.14:
	v_add_co_u32 v17, s0, s1, v32
	v_add_co_ci_u32_e64 v18, s0, s4, v33, s0
	ds_read_b32 v11, v2 offset:2744
	global_load_dword v3, v[17:18], off
	s_waitcnt lgkmcnt(0)
	v_pk_add_f16 v15, v16, v11 neg_lo:[0,1] neg_hi:[0,1]
	v_pk_add_f16 v11, v11, v16
	v_bfi_b32 v16, 0xffff, v15, v11
	v_bfi_b32 v11, 0xffff, v11, v15
	v_pk_mul_f16 v16, v16, 0.5 op_sel_hi:[1,0]
	v_pk_mul_f16 v17, v11, 0.5 op_sel_hi:[1,0]
	s_waitcnt vmcnt(0)
	v_pk_mul_f16 v15, v3, v16 op_sel:[1,0]
	v_pk_mul_f16 v16, v3, v16 op_sel_hi:[0,1]
	v_pk_fma_f16 v3, v11, 0.5, v15 op_sel_hi:[1,0,1]
	v_sub_f16_e32 v11, v17, v15
	v_sub_f16_sdwa v17, v15, v17 dst_sel:DWORD dst_unused:UNUSED_PAD src0_sel:WORD_1 src1_sel:WORD_1
	v_pk_add_f16 v18, v3, v16 op_sel:[0,1] op_sel_hi:[1,0]
	v_pk_add_f16 v19, v3, v16 op_sel:[0,1] op_sel_hi:[1,0] neg_lo:[0,1] neg_hi:[0,1]
	v_sub_f16_sdwa v3, v11, v16 dst_sel:DWORD dst_unused:UNUSED_PAD src0_sel:DWORD src1_sel:WORD_1
	v_sub_f16_e32 v11, v17, v16
                                        ; implicit-def: $vgpr16
	v_bfi_b32 v15, 0xffff, v18, v19
.LBB0_15:
	s_or_saveexec_b32 s0, s5
	v_mul_i32_i24_e32 v14, 0xffffffe8, v14
	s_xor_b32 exec_lo, exec_lo, s0
	s_cbranch_execz .LBB0_17
; %bb.16:
	v_mov_b32_e32 v11, 0
	s_waitcnt lgkmcnt(0)
	v_alignbit_b32 v3, s0, v16, 16
	ds_read_u16 v15, v11 offset:1374
	v_pk_add_f16 v17, v3, v16
	v_sub_f16_sdwa v3, v16, v16 dst_sel:DWORD dst_unused:UNUSED_PAD src0_sel:DWORD src1_sel:WORD_1
	s_waitcnt lgkmcnt(0)
	v_xor_b32_e32 v16, 0x8000, v15
	v_pack_b32_f16 v15, v17, 0
	ds_write_b16 v11, v16 offset:1374
.LBB0_17:
	s_or_b32 exec_lo, exec_lo, s0
	s_waitcnt lgkmcnt(0)
	v_add_co_u32 v16, s0, s1, v30
	v_add_co_ci_u32_e64 v17, s0, s4, v31, s0
	global_load_dword v18, v[16:17], off
	v_add_co_u32 v16, s0, s1, v28
	v_add_co_ci_u32_e64 v17, s0, s4, v29, s0
	global_load_dword v19, v[16:17], off
	;; [unrolled: 3-line block ×3, first 2 shown]
	v_add_co_u32 v16, s0, s1, v22
	v_add_co_ci_u32_e64 v17, s0, s4, v23, s0
	v_add_co_u32 v6, s0, s1, v6
	v_add_co_ci_u32_e64 v7, s0, s4, v7, s0
	s_clause 0x1
	global_load_dword v16, v[16:17], off
	global_load_dword v6, v[6:7], off
	ds_write_b16 v2, v11 offset:2746
	ds_write_b32 v34, v15
	ds_write_b16 v2, v3 offset:2744
	v_add_co_u32 v3, s0, s1, v4
	v_add_co_ci_u32_e64 v4, s0, s4, v5, s0
	v_add_nc_u32_e32 v7, v35, v14
	ds_read_b32 v11, v2 offset:2548
	ds_read_b32 v14, v7
	global_load_dword v3, v[3:4], off
	s_waitcnt lgkmcnt(0)
	v_pk_add_f16 v4, v14, v11 neg_lo:[0,1] neg_hi:[0,1]
	v_pk_add_f16 v5, v14, v11
	v_bfi_b32 v11, 0xffff, v4, v5
	v_bfi_b32 v4, 0xffff, v5, v4
	v_pk_mul_f16 v5, v11, 0.5 op_sel_hi:[1,0]
	v_pk_mul_f16 v4, v4, 0.5 op_sel_hi:[1,0]
	s_waitcnt vmcnt(5)
	v_pk_fma_f16 v11, v18, v5, v4 op_sel:[1,0,0]
	v_pk_mul_f16 v14, v18, v5 op_sel_hi:[0,1]
	v_pk_fma_f16 v15, v18, v5, v4 op_sel:[1,0,0] neg_lo:[1,0,0] neg_hi:[1,0,0]
	v_pk_fma_f16 v4, v18, v5, v4 op_sel:[1,0,0] neg_lo:[0,0,1] neg_hi:[0,0,1]
	v_pk_add_f16 v5, v11, v14 op_sel:[0,1] op_sel_hi:[1,0]
	v_pk_add_f16 v11, v11, v14 op_sel:[0,1] op_sel_hi:[1,0] neg_lo:[0,1] neg_hi:[0,1]
	v_pk_add_f16 v15, v15, v14 op_sel:[0,1] op_sel_hi:[1,0] neg_lo:[0,1] neg_hi:[0,1]
	v_pk_add_f16 v4, v4, v14 op_sel:[0,1] op_sel_hi:[1,0] neg_lo:[0,1] neg_hi:[0,1]
	v_bfi_b32 v5, 0xffff, v5, v11
	v_bfi_b32 v4, 0xffff, v15, v4
	ds_write_b32 v7, v5
	ds_write_b32 v2, v4 offset:2548
	ds_read_b32 v4, v42
	ds_read_b32 v5, v2 offset:2352
	s_waitcnt lgkmcnt(0)
	v_pk_add_f16 v7, v4, v5 neg_lo:[0,1] neg_hi:[0,1]
	v_pk_add_f16 v4, v4, v5
	v_bfi_b32 v5, 0xffff, v7, v4
	v_bfi_b32 v4, 0xffff, v4, v7
	v_pk_mul_f16 v5, v5, 0.5 op_sel_hi:[1,0]
	v_pk_mul_f16 v4, v4, 0.5 op_sel_hi:[1,0]
	s_waitcnt vmcnt(4)
	v_pk_mul_f16 v11, v19, v5 op_sel_hi:[0,1]
	v_pk_fma_f16 v7, v19, v5, v4 op_sel:[1,0,0]
	v_pk_fma_f16 v14, v19, v5, v4 op_sel:[1,0,0] neg_lo:[1,0,0] neg_hi:[1,0,0]
	v_pk_fma_f16 v4, v19, v5, v4 op_sel:[1,0,0] neg_lo:[0,0,1] neg_hi:[0,0,1]
	v_pk_add_f16 v5, v7, v11 op_sel:[0,1] op_sel_hi:[1,0]
	v_pk_add_f16 v7, v7, v11 op_sel:[0,1] op_sel_hi:[1,0] neg_lo:[0,1] neg_hi:[0,1]
	v_pk_add_f16 v14, v14, v11 op_sel:[0,1] op_sel_hi:[1,0] neg_lo:[0,1] neg_hi:[0,1]
	v_pk_add_f16 v4, v4, v11 op_sel:[0,1] op_sel_hi:[1,0] neg_lo:[0,1] neg_hi:[0,1]
	v_bfi_b32 v5, 0xffff, v5, v7
	v_bfi_b32 v4, 0xffff, v14, v4
	ds_write_b32 v42, v5
	ds_write_b32 v2, v4 offset:2352
	ds_read_b32 v4, v1
	ds_read_b32 v5, v2 offset:2156
	s_waitcnt lgkmcnt(0)
	v_pk_add_f16 v7, v4, v5 neg_lo:[0,1] neg_hi:[0,1]
	v_pk_add_f16 v4, v4, v5
	v_bfi_b32 v5, 0xffff, v7, v4
	v_bfi_b32 v4, 0xffff, v4, v7
	v_pk_mul_f16 v5, v5, 0.5 op_sel_hi:[1,0]
	v_pk_mul_f16 v4, v4, 0.5 op_sel_hi:[1,0]
	s_waitcnt vmcnt(3)
	v_pk_mul_f16 v11, v20, v5 op_sel_hi:[0,1]
	v_pk_fma_f16 v7, v20, v5, v4 op_sel:[1,0,0]
	v_pk_fma_f16 v14, v20, v5, v4 op_sel:[1,0,0] neg_lo:[1,0,0] neg_hi:[1,0,0]
	v_pk_fma_f16 v4, v20, v5, v4 op_sel:[1,0,0] neg_lo:[0,0,1] neg_hi:[0,0,1]
	v_pk_add_f16 v5, v7, v11 op_sel:[0,1] op_sel_hi:[1,0]
	v_pk_add_f16 v7, v7, v11 op_sel:[0,1] op_sel_hi:[1,0] neg_lo:[0,1] neg_hi:[0,1]
	v_pk_add_f16 v14, v14, v11 op_sel:[0,1] op_sel_hi:[1,0] neg_lo:[0,1] neg_hi:[0,1]
	v_pk_add_f16 v4, v4, v11 op_sel:[0,1] op_sel_hi:[1,0] neg_lo:[0,1] neg_hi:[0,1]
	v_bfi_b32 v5, 0xffff, v5, v7
	v_bfi_b32 v4, 0xffff, v14, v4
	ds_write_b32 v1, v5
	ds_write_b32 v2, v4 offset:2156
	ds_read_b32 v1, v41
	ds_read_b32 v4, v2 offset:1960
	s_waitcnt lgkmcnt(0)
	v_pk_add_f16 v5, v1, v4 neg_lo:[0,1] neg_hi:[0,1]
	v_pk_add_f16 v1, v1, v4
	v_bfi_b32 v4, 0xffff, v5, v1
	v_bfi_b32 v1, 0xffff, v1, v5
	v_pk_mul_f16 v4, v4, 0.5 op_sel_hi:[1,0]
	v_pk_mul_f16 v1, v1, 0.5 op_sel_hi:[1,0]
	s_waitcnt vmcnt(2)
	v_pk_mul_f16 v7, v16, v4 op_sel_hi:[0,1]
	v_pk_fma_f16 v5, v16, v4, v1 op_sel:[1,0,0]
	v_pk_fma_f16 v11, v16, v4, v1 op_sel:[1,0,0] neg_lo:[1,0,0] neg_hi:[1,0,0]
	v_pk_fma_f16 v1, v16, v4, v1 op_sel:[1,0,0] neg_lo:[0,0,1] neg_hi:[0,0,1]
	v_pk_add_f16 v4, v5, v7 op_sel:[0,1] op_sel_hi:[1,0]
	v_pk_add_f16 v5, v5, v7 op_sel:[0,1] op_sel_hi:[1,0] neg_lo:[0,1] neg_hi:[0,1]
	v_pk_add_f16 v11, v11, v7 op_sel:[0,1] op_sel_hi:[1,0] neg_lo:[0,1] neg_hi:[0,1]
	v_pk_add_f16 v1, v1, v7 op_sel:[0,1] op_sel_hi:[1,0] neg_lo:[0,1] neg_hi:[0,1]
	v_bfi_b32 v4, 0xffff, v4, v5
	v_bfi_b32 v1, 0xffff, v11, v1
	ds_write_b32 v41, v4
	ds_write_b32 v2, v1 offset:1960
	ds_read_b32 v1, v0
	ds_read_b32 v4, v2 offset:1764
	s_waitcnt lgkmcnt(0)
	v_pk_add_f16 v5, v1, v4 neg_lo:[0,1] neg_hi:[0,1]
	v_pk_add_f16 v1, v1, v4
	v_bfi_b32 v4, 0xffff, v5, v1
	v_bfi_b32 v1, 0xffff, v1, v5
	v_pk_mul_f16 v4, v4, 0.5 op_sel_hi:[1,0]
	v_pk_mul_f16 v1, v1, 0.5 op_sel_hi:[1,0]
	s_waitcnt vmcnt(1)
	v_pk_mul_f16 v7, v6, v4 op_sel_hi:[0,1]
	v_pk_fma_f16 v5, v6, v4, v1 op_sel:[1,0,0]
	v_pk_fma_f16 v11, v6, v4, v1 op_sel:[1,0,0] neg_lo:[1,0,0] neg_hi:[1,0,0]
	v_pk_fma_f16 v1, v6, v4, v1 op_sel:[1,0,0] neg_lo:[0,0,1] neg_hi:[0,0,1]
	v_pk_add_f16 v4, v5, v7 op_sel:[0,1] op_sel_hi:[1,0]
	v_pk_add_f16 v5, v5, v7 op_sel:[0,1] op_sel_hi:[1,0] neg_lo:[0,1] neg_hi:[0,1]
	v_pk_add_f16 v6, v11, v7 op_sel:[0,1] op_sel_hi:[1,0] neg_lo:[0,1] neg_hi:[0,1]
	v_pk_add_f16 v1, v1, v7 op_sel:[0,1] op_sel_hi:[1,0] neg_lo:[0,1] neg_hi:[0,1]
	v_bfi_b32 v4, 0xffff, v4, v5
	v_bfi_b32 v1, 0xffff, v6, v1
	ds_write_b32 v0, v4
	ds_write_b32 v2, v1 offset:1764
	ds_read_b32 v0, v40
	ds_read_b32 v1, v2 offset:1568
	s_waitcnt lgkmcnt(0)
	v_pk_add_f16 v4, v0, v1 neg_lo:[0,1] neg_hi:[0,1]
	v_pk_add_f16 v0, v0, v1
	v_bfi_b32 v1, 0xffff, v4, v0
	v_bfi_b32 v0, 0xffff, v0, v4
	v_pk_mul_f16 v1, v1, 0.5 op_sel_hi:[1,0]
	v_pk_mul_f16 v0, v0, 0.5 op_sel_hi:[1,0]
	s_waitcnt vmcnt(0)
	v_pk_mul_f16 v5, v3, v1 op_sel_hi:[0,1]
	v_pk_fma_f16 v4, v3, v1, v0 op_sel:[1,0,0]
	v_pk_fma_f16 v6, v3, v1, v0 op_sel:[1,0,0] neg_lo:[1,0,0] neg_hi:[1,0,0]
	v_pk_fma_f16 v0, v3, v1, v0 op_sel:[1,0,0] neg_lo:[0,0,1] neg_hi:[0,0,1]
	v_pk_add_f16 v1, v4, v5 op_sel:[0,1] op_sel_hi:[1,0]
	v_pk_add_f16 v3, v4, v5 op_sel:[0,1] op_sel_hi:[1,0] neg_lo:[0,1] neg_hi:[0,1]
	v_pk_add_f16 v4, v6, v5 op_sel:[0,1] op_sel_hi:[1,0] neg_lo:[0,1] neg_hi:[0,1]
	;; [unrolled: 1-line block ×3, first 2 shown]
	v_bfi_b32 v1, 0xffff, v1, v3
	v_bfi_b32 v0, 0xffff, v4, v0
	ds_write_b32 v40, v1
	ds_write_b32 v2, v0 offset:1568
	s_waitcnt lgkmcnt(0)
	s_barrier
	buffer_gl0_inv
	s_and_saveexec_b32 s0, vcc_lo
	s_cbranch_execz .LBB0_20
; %bb.18:
	v_mul_lo_u32 v2, s3, v12
	v_mul_lo_u32 v3, s2, v13
	v_mad_u64_u32 v[0:1], null, s2, v12, 0
	v_lshl_add_u32 v20, v10, 2, 0
	v_mov_b32_e32 v11, 0
	v_add_nc_u32_e32 v4, 49, v10
	v_add_nc_u32_e32 v6, 0x62, v10
	;; [unrolled: 1-line block ×4, first 2 shown]
	v_add3_u32 v1, v1, v3, v2
	v_lshlrev_b64 v[2:3], 2, v[8:9]
	ds_read2_b32 v[8:9], v20 offset1:49
	v_mov_b32_e32 v5, v11
	v_lshlrev_b64 v[12:13], 2, v[10:11]
	v_lshlrev_b64 v[0:1], 2, v[0:1]
	v_mov_b32_e32 v7, v11
	v_mov_b32_e32 v15, v11
	v_add_nc_u32_e32 v16, 0x126, v10
	v_mov_b32_e32 v17, v11
	v_add_co_u32 v0, vcc_lo, s10, v0
	v_add_co_ci_u32_e32 v1, vcc_lo, s11, v1, vcc_lo
	v_lshlrev_b64 v[14:15], 2, v[14:15]
	v_add_co_u32 v0, vcc_lo, v0, v2
	v_add_co_ci_u32_e32 v1, vcc_lo, v1, v3, vcc_lo
	v_lshlrev_b64 v[2:3], 2, v[4:5]
	v_add_co_u32 v4, vcc_lo, v0, v12
	v_add_co_ci_u32_e32 v5, vcc_lo, v1, v13, vcc_lo
	v_add_nc_u32_e32 v12, 0x93, v10
	v_add_co_u32 v2, vcc_lo, v0, v2
	v_add_co_ci_u32_e32 v3, vcc_lo, v1, v3, vcc_lo
	v_mov_b32_e32 v13, v11
	s_waitcnt lgkmcnt(0)
	global_store_dword v[4:5], v8, off
	global_store_dword v[2:3], v9, off
	ds_read2_b32 v[2:3], v20 offset0:98 offset1:147
	v_lshlrev_b64 v[4:5], 2, v[6:7]
	v_lshlrev_b64 v[6:7], 2, v[12:13]
	ds_read2_b32 v[12:13], v20 offset0:196 offset1:245
	v_add_nc_u32_e32 v8, 0xc4, v10
	v_mov_b32_e32 v9, v11
	ds_read2_b32 v[18:19], v21 offset0:38 offset1:87
	v_add_co_u32 v4, vcc_lo, v0, v4
	v_add_co_ci_u32_e32 v5, vcc_lo, v1, v5, vcc_lo
	v_lshlrev_b64 v[8:9], 2, v[8:9]
	v_add_co_u32 v6, vcc_lo, v0, v6
	v_add_co_ci_u32_e32 v7, vcc_lo, v1, v7, vcc_lo
	v_add_co_u32 v8, vcc_lo, v0, v8
	v_add_co_ci_u32_e32 v9, vcc_lo, v1, v9, vcc_lo
	s_waitcnt lgkmcnt(2)
	global_store_dword v[4:5], v2, off
	global_store_dword v[6:7], v3, off
	s_waitcnt lgkmcnt(1)
	global_store_dword v[8:9], v12, off
	v_lshlrev_b64 v[2:3], 2, v[16:17]
	v_add_co_u32 v4, vcc_lo, v0, v14
	v_add_co_ci_u32_e32 v5, vcc_lo, v1, v15, vcc_lo
	v_add_nc_u32_e32 v6, 0x157, v10
	v_add_co_u32 v2, vcc_lo, v0, v2
	v_add_co_ci_u32_e32 v3, vcc_lo, v1, v3, vcc_lo
	v_mov_b32_e32 v7, v11
	v_add_nc_u32_e32 v8, 0x188, v10
	v_mov_b32_e32 v9, v11
	global_store_dword v[4:5], v13, off
	s_waitcnt lgkmcnt(0)
	global_store_dword v[2:3], v18, off
	ds_read2_b32 v[4:5], v21 offset0:136 offset1:185
	v_lshlrev_b64 v[2:3], 2, v[6:7]
	v_add_nc_u32_e32 v12, 0x1ea, v10
	v_lshlrev_b64 v[6:7], 2, v[8:9]
	v_add_nc_u32_e32 v8, 0x1b9, v10
	v_mov_b32_e32 v13, v11
	v_add_nc_u32_e32 v14, 0x600, v20
	v_add_co_u32 v2, vcc_lo, v0, v2
	v_lshlrev_b64 v[8:9], 2, v[8:9]
	v_add_co_ci_u32_e32 v3, vcc_lo, v1, v3, vcc_lo
	v_add_co_u32 v6, vcc_lo, v0, v6
	v_add_co_ci_u32_e32 v7, vcc_lo, v1, v7, vcc_lo
	v_add_co_u32 v8, vcc_lo, v0, v8
	v_add_co_ci_u32_e32 v9, vcc_lo, v1, v9, vcc_lo
	global_store_dword v[2:3], v19, off
	s_waitcnt lgkmcnt(0)
	global_store_dword v[6:7], v4, off
	global_store_dword v[8:9], v5, off
	v_add_nc_u32_e32 v6, 0x21b, v10
	v_mov_b32_e32 v7, v11
	v_lshlrev_b64 v[4:5], 2, v[12:13]
	v_add_nc_u32_e32 v12, 0x800, v20
	v_add_nc_u32_e32 v8, 0x24c, v10
	v_mov_b32_e32 v9, v11
	ds_read2_b32 v[2:3], v14 offset0:106 offset1:155
	v_lshlrev_b64 v[6:7], 2, v[6:7]
	v_add_nc_u32_e32 v14, 0x27d, v10
	v_mov_b32_e32 v15, v11
	ds_read2_b32 v[12:13], v12 offset0:76 offset1:125
	v_add_co_u32 v4, vcc_lo, v0, v4
	v_lshlrev_b64 v[8:9], 2, v[8:9]
	v_add_co_ci_u32_e32 v5, vcc_lo, v1, v5, vcc_lo
	v_add_co_u32 v6, vcc_lo, v0, v6
	v_lshlrev_b64 v[14:15], 2, v[14:15]
	v_add_co_ci_u32_e32 v7, vcc_lo, v1, v7, vcc_lo
	v_add_co_u32 v8, vcc_lo, v0, v8
	v_add_co_ci_u32_e32 v9, vcc_lo, v1, v9, vcc_lo
	v_add_co_u32 v14, vcc_lo, v0, v14
	v_add_co_ci_u32_e32 v15, vcc_lo, v1, v15, vcc_lo
	v_cmp_eq_u32_e32 vcc_lo, 48, v10
	s_waitcnt lgkmcnt(1)
	global_store_dword v[4:5], v2, off
	global_store_dword v[6:7], v3, off
	s_waitcnt lgkmcnt(0)
	global_store_dword v[8:9], v12, off
	global_store_dword v[14:15], v13, off
	s_and_b32 exec_lo, exec_lo, vcc_lo
	s_cbranch_execz .LBB0_20
; %bb.19:
	ds_read_b32 v2, v11 offset:2744
	v_add_co_u32 v0, vcc_lo, 0x800, v0
	v_add_co_ci_u32_e32 v1, vcc_lo, 0, v1, vcc_lo
	s_waitcnt lgkmcnt(0)
	global_store_dword v[0:1], v2, off offset:696
.LBB0_20:
	s_endpgm
	.section	.rodata,"a",@progbits
	.p2align	6, 0x0
	.amdhsa_kernel fft_rtc_back_len686_factors_7_7_7_2_wgs_49_tpt_49_half_op_CI_CI_unitstride_sbrr_R2C_dirReg
		.amdhsa_group_segment_fixed_size 0
		.amdhsa_private_segment_fixed_size 0
		.amdhsa_kernarg_size 104
		.amdhsa_user_sgpr_count 6
		.amdhsa_user_sgpr_private_segment_buffer 1
		.amdhsa_user_sgpr_dispatch_ptr 0
		.amdhsa_user_sgpr_queue_ptr 0
		.amdhsa_user_sgpr_kernarg_segment_ptr 1
		.amdhsa_user_sgpr_dispatch_id 0
		.amdhsa_user_sgpr_flat_scratch_init 0
		.amdhsa_user_sgpr_private_segment_size 0
		.amdhsa_wavefront_size32 1
		.amdhsa_uses_dynamic_stack 0
		.amdhsa_system_sgpr_private_segment_wavefront_offset 0
		.amdhsa_system_sgpr_workgroup_id_x 1
		.amdhsa_system_sgpr_workgroup_id_y 0
		.amdhsa_system_sgpr_workgroup_id_z 0
		.amdhsa_system_sgpr_workgroup_info 0
		.amdhsa_system_vgpr_workitem_id 0
		.amdhsa_next_free_vgpr 80
		.amdhsa_next_free_sgpr 27
		.amdhsa_reserve_vcc 1
		.amdhsa_reserve_flat_scratch 0
		.amdhsa_float_round_mode_32 0
		.amdhsa_float_round_mode_16_64 0
		.amdhsa_float_denorm_mode_32 3
		.amdhsa_float_denorm_mode_16_64 3
		.amdhsa_dx10_clamp 1
		.amdhsa_ieee_mode 1
		.amdhsa_fp16_overflow 0
		.amdhsa_workgroup_processor_mode 1
		.amdhsa_memory_ordered 1
		.amdhsa_forward_progress 0
		.amdhsa_shared_vgpr_count 0
		.amdhsa_exception_fp_ieee_invalid_op 0
		.amdhsa_exception_fp_denorm_src 0
		.amdhsa_exception_fp_ieee_div_zero 0
		.amdhsa_exception_fp_ieee_overflow 0
		.amdhsa_exception_fp_ieee_underflow 0
		.amdhsa_exception_fp_ieee_inexact 0
		.amdhsa_exception_int_div_zero 0
	.end_amdhsa_kernel
	.text
.Lfunc_end0:
	.size	fft_rtc_back_len686_factors_7_7_7_2_wgs_49_tpt_49_half_op_CI_CI_unitstride_sbrr_R2C_dirReg, .Lfunc_end0-fft_rtc_back_len686_factors_7_7_7_2_wgs_49_tpt_49_half_op_CI_CI_unitstride_sbrr_R2C_dirReg
                                        ; -- End function
	.section	.AMDGPU.csdata,"",@progbits
; Kernel info:
; codeLenInByte = 9632
; NumSgprs: 29
; NumVgprs: 80
; ScratchSize: 0
; MemoryBound: 0
; FloatMode: 240
; IeeeMode: 1
; LDSByteSize: 0 bytes/workgroup (compile time only)
; SGPRBlocks: 3
; VGPRBlocks: 9
; NumSGPRsForWavesPerEU: 29
; NumVGPRsForWavesPerEU: 80
; Occupancy: 12
; WaveLimiterHint : 1
; COMPUTE_PGM_RSRC2:SCRATCH_EN: 0
; COMPUTE_PGM_RSRC2:USER_SGPR: 6
; COMPUTE_PGM_RSRC2:TRAP_HANDLER: 0
; COMPUTE_PGM_RSRC2:TGID_X_EN: 1
; COMPUTE_PGM_RSRC2:TGID_Y_EN: 0
; COMPUTE_PGM_RSRC2:TGID_Z_EN: 0
; COMPUTE_PGM_RSRC2:TIDIG_COMP_CNT: 0
	.text
	.p2alignl 6, 3214868480
	.fill 48, 4, 3214868480
	.type	__hip_cuid_db3b71d70511bd4f,@object ; @__hip_cuid_db3b71d70511bd4f
	.section	.bss,"aw",@nobits
	.globl	__hip_cuid_db3b71d70511bd4f
__hip_cuid_db3b71d70511bd4f:
	.byte	0                               ; 0x0
	.size	__hip_cuid_db3b71d70511bd4f, 1

	.ident	"AMD clang version 19.0.0git (https://github.com/RadeonOpenCompute/llvm-project roc-6.4.0 25133 c7fe45cf4b819c5991fe208aaa96edf142730f1d)"
	.section	".note.GNU-stack","",@progbits
	.addrsig
	.addrsig_sym __hip_cuid_db3b71d70511bd4f
	.amdgpu_metadata
---
amdhsa.kernels:
  - .args:
      - .actual_access:  read_only
        .address_space:  global
        .offset:         0
        .size:           8
        .value_kind:     global_buffer
      - .offset:         8
        .size:           8
        .value_kind:     by_value
      - .actual_access:  read_only
        .address_space:  global
        .offset:         16
        .size:           8
        .value_kind:     global_buffer
      - .actual_access:  read_only
        .address_space:  global
        .offset:         24
        .size:           8
        .value_kind:     global_buffer
      - .actual_access:  read_only
        .address_space:  global
        .offset:         32
        .size:           8
        .value_kind:     global_buffer
      - .offset:         40
        .size:           8
        .value_kind:     by_value
      - .actual_access:  read_only
        .address_space:  global
        .offset:         48
        .size:           8
        .value_kind:     global_buffer
      - .actual_access:  read_only
        .address_space:  global
        .offset:         56
        .size:           8
        .value_kind:     global_buffer
      - .offset:         64
        .size:           4
        .value_kind:     by_value
      - .actual_access:  read_only
        .address_space:  global
        .offset:         72
        .size:           8
        .value_kind:     global_buffer
      - .actual_access:  read_only
        .address_space:  global
        .offset:         80
        .size:           8
        .value_kind:     global_buffer
      - .actual_access:  read_only
        .address_space:  global
        .offset:         88
        .size:           8
        .value_kind:     global_buffer
      - .actual_access:  write_only
        .address_space:  global
        .offset:         96
        .size:           8
        .value_kind:     global_buffer
    .group_segment_fixed_size: 0
    .kernarg_segment_align: 8
    .kernarg_segment_size: 104
    .language:       OpenCL C
    .language_version:
      - 2
      - 0
    .max_flat_workgroup_size: 49
    .name:           fft_rtc_back_len686_factors_7_7_7_2_wgs_49_tpt_49_half_op_CI_CI_unitstride_sbrr_R2C_dirReg
    .private_segment_fixed_size: 0
    .sgpr_count:     29
    .sgpr_spill_count: 0
    .symbol:         fft_rtc_back_len686_factors_7_7_7_2_wgs_49_tpt_49_half_op_CI_CI_unitstride_sbrr_R2C_dirReg.kd
    .uniform_work_group_size: 1
    .uses_dynamic_stack: false
    .vgpr_count:     80
    .vgpr_spill_count: 0
    .wavefront_size: 32
    .workgroup_processor_mode: 1
amdhsa.target:   amdgcn-amd-amdhsa--gfx1030
amdhsa.version:
  - 1
  - 2
...

	.end_amdgpu_metadata
